;; amdgpu-corpus repo=ROCm/rocFFT kind=compiled arch=gfx1030 opt=O3
	.text
	.amdgcn_target "amdgcn-amd-amdhsa--gfx1030"
	.amdhsa_code_object_version 6
	.protected	fft_rtc_back_len125_factors_5_5_5_wgs_250_tpt_25_dim3_dp_op_CI_CI_sbcc_twdbase6_3step_dirReg_intrinsicReadWrite ; -- Begin function fft_rtc_back_len125_factors_5_5_5_wgs_250_tpt_25_dim3_dp_op_CI_CI_sbcc_twdbase6_3step_dirReg_intrinsicReadWrite
	.globl	fft_rtc_back_len125_factors_5_5_5_wgs_250_tpt_25_dim3_dp_op_CI_CI_sbcc_twdbase6_3step_dirReg_intrinsicReadWrite
	.p2align	8
	.type	fft_rtc_back_len125_factors_5_5_5_wgs_250_tpt_25_dim3_dp_op_CI_CI_sbcc_twdbase6_3step_dirReg_intrinsicReadWrite,@function
fft_rtc_back_len125_factors_5_5_5_wgs_250_tpt_25_dim3_dp_op_CI_CI_sbcc_twdbase6_3step_dirReg_intrinsicReadWrite: ; @fft_rtc_back_len125_factors_5_5_5_wgs_250_tpt_25_dim3_dp_op_CI_CI_sbcc_twdbase6_3step_dirReg_intrinsicReadWrite
; %bb.0:
	s_clause 0x1
	s_load_dwordx4 s[12:15], s[4:5], 0x10
	s_load_dwordx2 s[22:23], s[4:5], 0x20
	s_mov_b32 s0, exec_lo
	v_cmpx_gt_u32_e32 0xc0, v0
	s_cbranch_execz .LBB0_2
; %bb.1:
	s_load_dwordx2 s[2:3], s[4:5], 0x8
	v_lshlrev_b32_e32 v5, 4, v0
	s_waitcnt lgkmcnt(0)
	global_load_dwordx4 v[1:4], v5, s[2:3]
	v_add3_u32 v5, 0, v5, 0x4e20
	s_waitcnt vmcnt(0)
	ds_write2_b64 v5, v[1:2], v[3:4] offset1:1
.LBB0_2:
	s_or_b32 exec_lo, exec_lo, s0
	s_waitcnt lgkmcnt(0)
	s_load_dwordx2 s[20:21], s[12:13], 0x8
	s_mov_b64 s[26:27], 0
	s_waitcnt lgkmcnt(0)
	s_add_u32 s0, s20, -1
	s_addc_u32 s1, s21, -1
	s_add_u32 s2, 0, 0x99986000
	s_addc_u32 s3, 0, 0x59
	s_mul_hi_u32 s8, s2, -10
	s_add_i32 s3, s3, 0x19999940
	s_sub_i32 s8, s8, s2
	s_mul_i32 s10, s3, -10
	s_mul_i32 s7, s2, -10
	s_add_i32 s8, s8, s10
	s_mul_hi_u32 s9, s2, s7
	s_mul_i32 s16, s2, s8
	s_mul_hi_u32 s10, s2, s8
	s_mul_hi_u32 s11, s3, s7
	s_mul_i32 s7, s3, s7
	s_add_u32 s9, s9, s16
	s_addc_u32 s10, 0, s10
	s_mul_hi_u32 s17, s3, s8
	s_add_u32 s7, s9, s7
	s_mul_i32 s8, s3, s8
	s_addc_u32 s7, s10, s11
	s_addc_u32 s9, s17, 0
	s_add_u32 s7, s7, s8
	v_add_co_u32 v1, s2, s2, s7
	s_addc_u32 s7, 0, s9
	s_cmp_lg_u32 s2, 0
	s_addc_u32 s2, s3, s7
	v_readfirstlane_b32 s3, v1
	s_mul_i32 s8, s0, s2
	s_mul_hi_u32 s7, s0, s2
	s_mul_hi_u32 s9, s1, s2
	s_mul_i32 s2, s1, s2
	s_mul_hi_u32 s10, s0, s3
	s_mul_hi_u32 s11, s1, s3
	s_mul_i32 s3, s1, s3
	s_add_u32 s8, s10, s8
	s_addc_u32 s7, 0, s7
	s_add_u32 s3, s8, s3
	s_addc_u32 s3, s7, s11
	s_addc_u32 s7, s9, 0
	s_add_u32 s2, s3, s2
	s_addc_u32 s3, 0, s7
	s_mul_i32 s8, s2, 10
	s_add_u32 s7, s2, 1
	v_sub_co_u32 v1, s0, s0, s8
	s_mul_hi_u32 s8, s2, 10
	s_addc_u32 s9, s3, 0
	s_mul_i32 s10, s3, 10
	v_sub_co_u32 v2, s11, v1, 10
	s_add_u32 s16, s2, 2
	s_addc_u32 s17, s3, 0
	s_add_i32 s8, s8, s10
	s_cmp_lg_u32 s0, 0
	v_readfirstlane_b32 s0, v2
	s_subb_u32 s1, s1, s8
	s_cmp_lg_u32 s11, 0
	s_subb_u32 s8, s1, 0
	s_cmp_gt_u32 s0, 9
	s_cselect_b32 s0, -1, 0
	s_cmp_eq_u32 s8, 0
	v_readfirstlane_b32 s8, v1
	s_cselect_b32 s0, s0, -1
	s_cmp_lg_u32 s0, 0
	s_cselect_b32 s0, s16, s7
	s_cselect_b32 s9, s17, s9
	s_cmp_gt_u32 s8, 9
	s_cselect_b32 s7, -1, 0
	s_cmp_eq_u32 s1, 0
	s_cselect_b32 s1, s7, -1
	s_mov_b32 s7, 0
	s_cmp_lg_u32 s1, 0
	s_cselect_b32 s0, s0, s2
	s_cselect_b32 s1, s9, s3
	s_add_u32 s24, s0, 1
	s_addc_u32 s25, s1, 0
	v_cmp_lt_u64_e64 s0, s[6:7], s[24:25]
	s_and_b32 vcc_lo, exec_lo, s0
	s_cbranch_vccnz .LBB0_4
; %bb.3:
	v_cvt_f32_u32_e32 v1, s24
	s_sub_i32 s1, 0, s24
	s_mov_b32 s27, s7
	v_rcp_iflag_f32_e32 v1, v1
	v_mul_f32_e32 v1, 0x4f7ffffe, v1
	v_cvt_u32_f32_e32 v1, v1
	v_readfirstlane_b32 s0, v1
	s_mul_i32 s1, s1, s0
	s_mul_hi_u32 s1, s0, s1
	s_add_i32 s0, s0, s1
	s_mul_hi_u32 s0, s6, s0
	s_mul_i32 s1, s0, s24
	s_add_i32 s2, s0, 1
	s_sub_i32 s1, s6, s1
	s_sub_i32 s3, s1, s24
	s_cmp_ge_u32 s1, s24
	s_cselect_b32 s0, s2, s0
	s_cselect_b32 s1, s3, s1
	s_add_i32 s2, s0, 1
	s_cmp_ge_u32 s1, s24
	s_cselect_b32 s26, s2, s0
.LBB0_4:
	s_load_dwordx2 s[34:35], s[12:13], 0x10
	s_clause 0x1
	s_load_dwordx4 s[8:11], s[4:5], 0x58
	s_load_dwordx2 s[12:13], s[4:5], 0x0
	s_load_dwordx4 s[16:19], s[14:15], 0x0
	s_load_dwordx4 s[0:3], s[22:23], 0x0
	s_mov_b64 s[4:5], s[26:27]
	s_waitcnt lgkmcnt(0)
	v_cmp_lt_u64_e64 s1, s[26:27], s[34:35]
	s_and_b32 vcc_lo, exec_lo, s1
	s_cbranch_vccnz .LBB0_6
; %bb.5:
	v_cvt_f32_u32_e32 v1, s34
	s_sub_i32 s3, 0, s34
	v_rcp_iflag_f32_e32 v1, v1
	v_mul_f32_e32 v1, 0x4f7ffffe, v1
	v_cvt_u32_f32_e32 v1, v1
	v_readfirstlane_b32 s1, v1
	s_mul_i32 s3, s3, s1
	s_mul_hi_u32 s3, s1, s3
	s_add_i32 s1, s1, s3
	s_mul_hi_u32 s1, s26, s1
	s_mul_i32 s1, s1, s34
	s_sub_i32 s1, s26, s1
	s_sub_i32 s3, s1, s34
	s_cmp_ge_u32 s1, s34
	s_cselect_b32 s1, s3, s1
	s_sub_i32 s3, s1, s34
	s_cmp_ge_u32 s1, s34
	s_cselect_b32 s4, s3, s1
.LBB0_6:
	s_load_dwordx2 s[30:31], s[14:15], 0x10
	s_load_dwordx2 s[28:29], s[22:23], 0x10
	s_mul_i32 s1, s34, s25
	s_mul_hi_u32 s3, s34, s24
	s_mul_i32 s34, s34, s24
	s_add_i32 s1, s3, s1
	s_mul_i32 s3, s35, s24
	s_mov_b64 s[36:37], 0
	s_add_i32 s35, s1, s3
	v_cmp_lt_u64_e64 s1, s[6:7], s[34:35]
	s_and_b32 vcc_lo, exec_lo, s1
	s_cbranch_vccnz .LBB0_8
; %bb.7:
	v_cvt_f32_u32_e32 v1, s34
	s_sub_i32 s3, 0, s34
	v_rcp_iflag_f32_e32 v1, v1
	v_mul_f32_e32 v1, 0x4f7ffffe, v1
	v_cvt_u32_f32_e32 v1, v1
	v_readfirstlane_b32 s1, v1
	s_mul_i32 s3, s3, s1
	s_mul_hi_u32 s3, s1, s3
	s_add_i32 s1, s1, s3
	s_mul_hi_u32 s1, s6, s1
	s_mul_i32 s3, s1, s34
	s_add_i32 s5, s1, 1
	s_sub_i32 s3, s6, s3
	s_sub_i32 s7, s3, s34
	s_cmp_ge_u32 s3, s34
	s_cselect_b32 s1, s5, s1
	s_cselect_b32 s3, s7, s3
	s_add_i32 s5, s1, 1
	s_cmp_ge_u32 s3, s34
	s_cselect_b32 s36, s5, s1
.LBB0_8:
	s_mul_i32 s1, s26, s25
	s_mul_hi_u32 s3, s26, s24
	s_waitcnt lgkmcnt(0)
	s_mul_i32 s7, s30, s4
	s_add_i32 s3, s3, s1
	s_mul_i32 s1, s26, s24
	v_mul_u32_u24_e32 v1, 0x199a, v0
	s_sub_u32 s1, s6, s1
	s_subb_u32 s3, 0, s3
	s_mul_hi_u32 s5, s1, 10
	s_mul_i32 s3, s3, 10
	v_lshrrev_b32_e32 v1, 16, v1
	s_add_i32 s5, s5, s3
	s_mul_i32 s3, s1, 10
	s_mov_b32 s17, 0x3fee6f0e
	s_mul_i32 s1, s18, s3
	s_mul_i32 s6, s2, s3
	s_add_i32 s7, s7, s1
	s_mul_i32 s1, s28, s4
	s_load_dword s4, s[14:15], 0x18
	s_add_i32 s1, s1, s6
	v_mul_lo_u16 v2, v1, 10
	v_mul_lo_u32 v3, s16, v1
	s_mov_b32 s19, 0x3fe2cf23
	s_mov_b32 s14, 0x372fe950
	;; [unrolled: 1-line block ×3, first 2 shown]
	v_sub_nc_u16 v2, v0, v2
	v_and_b32_e32 v10, 0xffff, v2
	v_mul_lo_u32 v2, s18, v10
	v_lshlrev_b32_e32 v4, 4, v10
	s_waitcnt lgkmcnt(0)
	s_mul_i32 s4, s4, s36
	s_add_i32 s6, s4, s7
	s_load_dword s4, s[22:23], 0x18
	s_mov_b32 s7, 0x31014000
	v_add_lshl_u32 v3, v2, v3, 4
	s_waitcnt lgkmcnt(0)
	s_mul_i32 s4, s4, s36
	s_add_i32 s1, s4, s1
	v_add_co_u32 v5, s4, s3, v10
	v_add_co_ci_u32_e64 v6, null, s5, 0, s4
	s_add_u32 s4, s3, 10
	s_addc_u32 s5, s5, 0
	s_lshl_b32 s1, s1, 4
	v_cmp_le_u64_e64 s3, s[4:5], s[20:21]
	v_cmp_gt_u64_e32 vcc_lo, s[20:21], v[5:6]
	s_mov_b32 s4, s8
	s_mov_b32 s5, s9
	;; [unrolled: 1-line block ×4, first 2 shown]
	s_or_b32 vcc_lo, s3, vcc_lo
	s_lshl_b32 s3, s6, 4
	v_cndmask_b32_e32 v3, -1, v3, vcc_lo
	s_mov_b32 s6, -2
	buffer_load_dwordx4 v[6:9], v3, s[4:7], s3 offen
	v_add_nc_u32_e32 v3, 25, v1
	v_mul_lo_u32 v3, s16, v3
	v_add_lshl_u32 v3, v2, v3, 4
	v_cndmask_b32_e32 v3, -1, v3, vcc_lo
	buffer_load_dwordx4 v[11:14], v3, s[4:7], s3 offen
	v_add_nc_u32_e32 v3, 50, v1
	v_mul_lo_u32 v3, s16, v3
	v_add_lshl_u32 v3, v2, v3, 4
	v_cndmask_b32_e32 v3, -1, v3, vcc_lo
	;; [unrolled: 5-line block ×3, first 2 shown]
	buffer_load_dwordx4 v[19:22], v3, s[4:7], s3 offen
	v_add_nc_u32_e32 v3, 0x64, v1
	v_mul_lo_u32 v3, s16, v3
	s_mov_b32 s16, s8
	v_add_lshl_u32 v2, v2, v3, 4
	v_cndmask_b32_e32 v2, -1, v2, vcc_lo
	buffer_load_dwordx4 v[23:26], v2, s[4:7], s3 offen
	s_mov_b32 s4, 0x4755a5e
	s_mov_b32 s5, 0xbfe2cf23
	s_mov_b32 s18, s4
	s_add_i32 s3, 0, 0x4e20
	s_waitcnt vmcnt(3)
	v_add_f64 v[2:3], v[6:7], v[11:12]
	s_waitcnt vmcnt(2)
	v_add_f64 v[2:3], v[2:3], v[15:16]
	v_add_f64 v[35:36], v[11:12], -v[15:16]
	s_waitcnt vmcnt(1)
	v_add_f64 v[2:3], v[2:3], v[19:20]
	v_add_f64 v[33:34], v[17:18], -v[21:22]
	s_waitcnt vmcnt(0)
	v_add_f64 v[27:28], v[2:3], v[23:24]
	v_add_f64 v[2:3], v[15:16], v[19:20]
	v_add_f64 v[29:30], v[13:14], -v[25:26]
	v_add_f64 v[37:38], v[23:24], -v[19:20]
	;; [unrolled: 1-line block ×3, first 2 shown]
	v_fma_f64 v[2:3], v[2:3], -0.5, v[6:7]
	v_add_f64 v[35:36], v[35:36], v[37:38]
	v_add_f64 v[37:38], v[15:16], -v[11:12]
	v_add_f64 v[15:16], v[15:16], -v[19:20]
	v_fma_f64 v[31:32], v[29:30], s[8:9], v[2:3]
	v_fma_f64 v[2:3], v[29:30], s[16:17], v[2:3]
	v_add_f64 v[37:38], v[37:38], v[39:40]
	v_fma_f64 v[31:32], v[33:34], s[4:5], v[31:32]
	v_fma_f64 v[2:3], v[33:34], s[18:19], v[2:3]
	;; [unrolled: 1-line block ×4, first 2 shown]
	v_add_f64 v[2:3], v[11:12], v[23:24]
	v_add_f64 v[11:12], v[11:12], -v[23:24]
	v_fma_f64 v[2:3], v[2:3], -0.5, v[6:7]
	v_fma_f64 v[6:7], v[33:34], s[16:17], v[2:3]
	v_fma_f64 v[2:3], v[33:34], s[8:9], v[2:3]
	v_add_f64 v[33:34], v[25:26], -v[21:22]
	v_fma_f64 v[6:7], v[29:30], s[4:5], v[6:7]
	v_fma_f64 v[2:3], v[29:30], s[18:19], v[2:3]
	;; [unrolled: 1-line block ×4, first 2 shown]
	v_add_f64 v[2:3], v[8:9], v[13:14]
	v_add_f64 v[2:3], v[2:3], v[17:18]
	;; [unrolled: 1-line block ×5, first 2 shown]
	v_fma_f64 v[2:3], v[2:3], -0.5, v[8:9]
	v_fma_f64 v[23:24], v[11:12], s[16:17], v[2:3]
	v_fma_f64 v[2:3], v[11:12], s[8:9], v[2:3]
	v_fma_f64 v[19:20], v[15:16], s[18:19], v[23:24]
	v_add_f64 v[23:24], v[13:14], -v[17:18]
	v_fma_f64 v[2:3], v[15:16], s[4:5], v[2:3]
	v_add_f64 v[23:24], v[23:24], v[33:34]
	v_fma_f64 v[37:38], v[23:24], s[14:15], v[2:3]
	v_add_f64 v[2:3], v[13:14], v[25:26]
	v_add_f64 v[13:14], v[17:18], -v[13:14]
	v_add_f64 v[17:18], v[21:22], -v[25:26]
	v_fma_f64 v[33:34], v[23:24], s[14:15], v[19:20]
	v_fma_f64 v[2:3], v[2:3], -0.5, v[8:9]
	v_add_f64 v[13:14], v[13:14], v[17:18]
	v_fma_f64 v[8:9], v[15:16], s[8:9], v[2:3]
	v_fma_f64 v[2:3], v[15:16], s[16:17], v[2:3]
	;; [unrolled: 1-line block ×6, first 2 shown]
	v_mul_u32_u24_e32 v2, 0x320, v1
	v_add3_u32 v2, 0, v2, v4
	ds_write_b128 v2, v[27:30]
	ds_write_b128 v2, v[31:34] offset:160
	ds_write_b128 v2, v[6:9] offset:320
	;; [unrolled: 1-line block ×4, first 2 shown]
	v_mad_i32_i24 v43, 0xfffffd80, v1, v2
	v_mul_lo_u16 v2, v1, 52
	s_waitcnt lgkmcnt(0)
	s_barrier
	buffer_gl0_inv
	ds_read_b128 v[6:9], v43
	ds_read_b128 v[11:14], v43 offset:4000
	ds_read_b128 v[15:18], v43 offset:8000
	;; [unrolled: 1-line block ×4, first 2 shown]
	v_lshrrev_b16 v2, 8, v2
	v_mul_lo_u16 v2, v2, 5
	v_sub_nc_u16 v44, v1, v2
	v_mov_b32_e32 v2, 6
	v_lshlrev_b32_sdwa v2, v2, v44 dst_sel:DWORD dst_unused:UNUSED_PAD src0_sel:DWORD src1_sel:BYTE_0
	s_clause 0x3
	global_load_dwordx4 v[27:30], v2, s[12:13] offset:48
	global_load_dwordx4 v[31:34], v2, s[12:13] offset:32
	;; [unrolled: 1-line block ×3, first 2 shown]
	global_load_dwordx4 v[39:42], v2, s[12:13]
	s_waitcnt vmcnt(0) lgkmcnt(0)
	s_barrier
	buffer_gl0_inv
	v_mul_f64 v[2:3], v[13:14], v[41:42]
	v_fma_f64 v[2:3], v[11:12], v[39:40], v[2:3]
	v_mul_f64 v[11:12], v[11:12], v[41:42]
	v_fma_f64 v[39:40], v[13:14], v[39:40], -v[11:12]
	v_mul_f64 v[11:12], v[17:18], v[37:38]
	v_fma_f64 v[41:42], v[15:16], v[35:36], v[11:12]
	v_mul_f64 v[11:12], v[15:16], v[37:38]
	v_fma_f64 v[35:36], v[17:18], v[35:36], -v[11:12]
	v_mul_f64 v[11:12], v[21:22], v[33:34]
	v_fma_f64 v[17:18], v[19:20], v[31:32], v[11:12]
	v_mul_f64 v[11:12], v[19:20], v[33:34]
	v_add_f64 v[19:20], v[2:3], -v[41:42]
	v_add_f64 v[13:14], v[41:42], v[17:18]
	v_fma_f64 v[31:32], v[21:22], v[31:32], -v[11:12]
	v_mul_f64 v[11:12], v[25:26], v[29:30]
	v_fma_f64 v[13:14], v[13:14], -0.5, v[6:7]
	v_fma_f64 v[21:22], v[23:24], v[27:28], v[11:12]
	v_mul_f64 v[11:12], v[23:24], v[29:30]
	v_add_f64 v[29:30], v[21:22], -v[17:18]
	v_fma_f64 v[25:26], v[25:26], v[27:28], -v[11:12]
	v_add_f64 v[27:28], v[35:36], -v[31:32]
	v_add_f64 v[11:12], v[6:7], v[2:3]
	v_add_f64 v[33:34], v[17:18], -v[21:22]
	v_add_f64 v[19:20], v[19:20], v[29:30]
	v_add_f64 v[23:24], v[39:40], -v[25:26]
	v_add_f64 v[29:30], v[41:42], -v[2:3]
	v_add_f64 v[11:12], v[11:12], v[41:42]
	v_fma_f64 v[15:16], v[23:24], s[8:9], v[13:14]
	v_fma_f64 v[13:14], v[23:24], s[16:17], v[13:14]
	v_add_f64 v[11:12], v[11:12], v[17:18]
	v_add_f64 v[29:30], v[29:30], v[33:34]
	v_add_f64 v[33:34], v[25:26], -v[31:32]
	v_fma_f64 v[15:16], v[27:28], s[4:5], v[15:16]
	v_fma_f64 v[13:14], v[27:28], s[18:19], v[13:14]
	v_add_f64 v[11:12], v[11:12], v[21:22]
	v_fma_f64 v[15:16], v[19:20], s[14:15], v[15:16]
	v_fma_f64 v[19:20], v[19:20], s[14:15], v[13:14]
	v_add_f64 v[13:14], v[2:3], v[21:22]
	v_add_f64 v[2:3], v[2:3], -v[21:22]
	v_fma_f64 v[13:14], v[13:14], -0.5, v[6:7]
	v_fma_f64 v[6:7], v[27:28], s[16:17], v[13:14]
	v_fma_f64 v[13:14], v[27:28], s[8:9], v[13:14]
	v_add_f64 v[27:28], v[35:36], v[31:32]
	v_fma_f64 v[6:7], v[23:24], s[4:5], v[6:7]
	v_fma_f64 v[13:14], v[23:24], s[18:19], v[13:14]
	v_fma_f64 v[27:28], v[27:28], -0.5, v[8:9]
	v_fma_f64 v[6:7], v[29:30], s[14:15], v[6:7]
	v_fma_f64 v[23:24], v[29:30], s[14:15], v[13:14]
	;; [unrolled: 1-line block ×3, first 2 shown]
	v_add_f64 v[29:30], v[41:42], -v[17:18]
	v_fma_f64 v[27:28], v[2:3], s[8:9], v[27:28]
	v_add_f64 v[13:14], v[8:9], v[39:40]
	v_fma_f64 v[17:18], v[29:30], s[18:19], v[21:22]
	v_add_f64 v[21:22], v[39:40], -v[35:36]
	v_fma_f64 v[27:28], v[29:30], s[4:5], v[27:28]
	v_add_f64 v[13:14], v[13:14], v[35:36]
	v_add_f64 v[21:22], v[21:22], v[33:34]
	v_add_f64 v[33:34], v[35:36], -v[39:40]
	v_add_f64 v[13:14], v[13:14], v[31:32]
	v_fma_f64 v[17:18], v[21:22], s[14:15], v[17:18]
	v_fma_f64 v[21:22], v[21:22], s[14:15], v[27:28]
	v_add_f64 v[27:28], v[39:40], v[25:26]
	v_add_f64 v[13:14], v[13:14], v[25:26]
	v_add_f64 v[25:26], v[31:32], -v[25:26]
	v_fma_f64 v[27:28], v[27:28], -0.5, v[8:9]
	v_add_f64 v[25:26], v[33:34], v[25:26]
	v_fma_f64 v[8:9], v[29:30], s[8:9], v[27:28]
	v_fma_f64 v[27:28], v[29:30], s[16:17], v[27:28]
	;; [unrolled: 1-line block ×6, first 2 shown]
	v_mul_u32_u24_e32 v2, 0x51f, v0
	v_mul_u32_u24_e32 v0, 0x107, v0
	v_lshrrev_b32_e32 v2, 16, v2
	v_lshrrev_b32_e32 v0, 16, v0
	v_mul_lo_u16 v2, v2, 25
	v_mul_lo_u16 v0, 0x7d, v0
	v_add_nc_u32_sdwa v2, v2, v44 dst_sel:DWORD dst_unused:UNUSED_PAD src0_sel:WORD_0 src1_sel:BYTE_0
	v_mul_u32_u24_e32 v2, 0xa0, v2
	v_add3_u32 v2, 0, v2, v4
	ds_write_b128 v2, v[11:14]
	ds_write_b128 v2, v[15:18] offset:800
	ds_write_b128 v2, v[6:9] offset:1600
	;; [unrolled: 1-line block ×4, first 2 shown]
	v_mul_lo_u16 v2, v1, 21
	s_waitcnt lgkmcnt(0)
	s_barrier
	buffer_gl0_inv
	ds_read_b128 v[12:15], v43
	ds_read_b128 v[6:9], v43 offset:4000
	ds_read_b128 v[16:19], v43 offset:8000
	;; [unrolled: 1-line block ×4, first 2 shown]
	v_lshrrev_b16 v2, 9, v2
	v_mul_lo_u16 v2, v2, 25
	v_sub_nc_u16 v1, v1, v2
	v_and_b32_e32 v11, 0xff, v1
	v_lshlrev_b32_e32 v36, 6, v11
	s_clause 0x3
	global_load_dwordx4 v[1:4], v36, s[12:13] offset:368
	global_load_dwordx4 v[28:31], v36, s[12:13] offset:352
	;; [unrolled: 1-line block ×4, first 2 shown]
	v_add_nc_u32_sdwa v0, v0, v11 dst_sel:DWORD dst_unused:UNUSED_PAD src0_sel:WORD_0 src1_sel:DWORD
	s_waitcnt vmcnt(0) lgkmcnt(3)
	v_mul_f64 v[40:41], v[8:9], v[38:39]
	v_fma_f64 v[40:41], v[6:7], v[36:37], v[40:41]
	v_mul_f64 v[6:7], v[6:7], v[38:39]
	v_fma_f64 v[36:37], v[8:9], v[36:37], -v[6:7]
	s_waitcnt lgkmcnt(2)
	v_mul_f64 v[6:7], v[18:19], v[34:35]
	v_fma_f64 v[8:9], v[16:17], v[32:33], v[6:7]
	v_mul_f64 v[6:7], v[16:17], v[34:35]
	v_fma_f64 v[16:17], v[18:19], v[32:33], -v[6:7]
	s_waitcnt lgkmcnt(1)
	v_mul_f64 v[6:7], v[22:23], v[30:31]
	v_fma_f64 v[18:19], v[20:21], v[28:29], v[6:7]
	v_mul_f64 v[6:7], v[20:21], v[30:31]
	v_add_f64 v[30:31], v[40:41], -v[8:9]
	v_fma_f64 v[20:21], v[22:23], v[28:29], -v[6:7]
	s_waitcnt lgkmcnt(0)
	v_mul_f64 v[6:7], v[26:27], v[3:4]
	v_mul_f64 v[3:4], v[24:25], v[3:4]
	v_add_f64 v[28:29], v[16:17], -v[20:21]
	v_fma_f64 v[22:23], v[24:25], v[1:2], v[6:7]
	v_fma_f64 v[1:2], v[26:27], v[1:2], -v[3:4]
	v_add_f64 v[3:4], v[12:13], v[40:41]
	v_add_f64 v[32:33], v[22:23], -v[18:19]
	v_add_f64 v[26:27], v[36:37], -v[1:2]
	v_add_f64 v[3:4], v[3:4], v[8:9]
	v_add_f64 v[34:35], v[18:19], -v[22:23]
	v_add_f64 v[30:31], v[30:31], v[32:33]
	v_add_f64 v[3:4], v[3:4], v[18:19]
	v_add_f64 v[24:25], v[3:4], v[22:23]
	v_add_f64 v[3:4], v[8:9], v[18:19]
	v_add_f64 v[18:19], v[8:9], -v[18:19]
	v_fma_f64 v[3:4], v[3:4], -0.5, v[12:13]
	v_fma_f64 v[6:7], v[26:27], s[8:9], v[3:4]
	v_fma_f64 v[3:4], v[26:27], s[16:17], v[3:4]
	;; [unrolled: 1-line block ×6, first 2 shown]
	v_add_f64 v[3:4], v[40:41], v[22:23]
	v_add_f64 v[30:31], v[8:9], -v[40:41]
	v_fma_f64 v[3:4], v[3:4], -0.5, v[12:13]
	v_add_f64 v[30:31], v[30:31], v[34:35]
	v_fma_f64 v[12:13], v[28:29], s[16:17], v[3:4]
	v_fma_f64 v[3:4], v[28:29], s[8:9], v[3:4]
	;; [unrolled: 1-line block ×6, first 2 shown]
	v_add_f64 v[3:4], v[14:15], v[36:37]
	v_add_f64 v[12:13], v[40:41], -v[22:23]
	v_add_f64 v[30:31], v[1:2], -v[20:21]
	v_add_f64 v[3:4], v[3:4], v[16:17]
	v_add_f64 v[3:4], v[3:4], v[20:21]
	;; [unrolled: 1-line block ×4, first 2 shown]
	v_fma_f64 v[3:4], v[3:4], -0.5, v[14:15]
	v_fma_f64 v[22:23], v[12:13], s[16:17], v[3:4]
	v_fma_f64 v[3:4], v[12:13], s[8:9], v[3:4]
	;; [unrolled: 1-line block ×3, first 2 shown]
	v_add_f64 v[22:23], v[36:37], -v[16:17]
	v_fma_f64 v[3:4], v[18:19], s[4:5], v[3:4]
	v_add_f64 v[16:17], v[16:17], -v[36:37]
	v_add_f64 v[22:23], v[22:23], v[30:31]
	v_fma_f64 v[30:31], v[22:23], s[14:15], v[8:9]
	v_fma_f64 v[8:9], v[22:23], s[14:15], v[3:4]
	v_add_f64 v[3:4], v[36:37], v[1:2]
	v_add_f64 v[1:2], v[20:21], -v[1:2]
	v_fma_f64 v[3:4], v[3:4], -0.5, v[14:15]
	v_add_f64 v[1:2], v[16:17], v[1:2]
	v_fma_f64 v[14:15], v[18:19], s[8:9], v[3:4]
	v_fma_f64 v[3:4], v[18:19], s[16:17], v[3:4]
	v_mul_lo_u32 v18, v11, v5
	v_mul_lo_u32 v5, v5, 25
	v_add_nc_u32_e32 v22, v18, v5
	v_fma_f64 v[14:15], v[12:13], s[18:19], v[14:15]
	v_fma_f64 v[3:4], v[12:13], s[4:5], v[3:4]
	v_lshrrev_b32_e32 v12, 2, v18
	s_mov_b32 s4, s10
	s_mov_b32 s5, s11
	v_and_b32_e32 v12, 0x3f0, v12
	v_add_nc_u32_e32 v12, s3, v12
	v_fma_f64 v[36:37], v[1:2], s[14:15], v[14:15]
	v_fma_f64 v[38:39], v[1:2], s[14:15], v[3:4]
	v_and_b32_e32 v1, 63, v18
	ds_read_b128 v[12:15], v12 offset:1024
	v_lshl_add_u32 v1, v1, 4, 0
	ds_read_b128 v[1:4], v1 offset:20000
	s_waitcnt lgkmcnt(0)
	v_mul_f64 v[16:17], v[3:4], v[14:15]
	v_fma_f64 v[16:17], v[1:2], v[12:13], -v[16:17]
	v_mul_f64 v[1:2], v[1:2], v[14:15]
	v_fma_f64 v[12:13], v[3:4], v[12:13], v[1:2]
	v_lshrrev_b32_e32 v1, 8, v18
	v_and_b32_e32 v1, 0x3f0, v1
	v_add_nc_u32_e32 v1, s3, v1
	ds_read_b128 v[1:4], v1 offset:2048
	s_waitcnt lgkmcnt(0)
	v_mul_f64 v[14:15], v[12:13], v[3:4]
	v_mul_f64 v[3:4], v[16:17], v[3:4]
	v_fma_f64 v[14:15], v[1:2], v[16:17], -v[14:15]
	v_fma_f64 v[3:4], v[1:2], v[12:13], v[3:4]
	v_lshrrev_b32_e32 v16, 2, v22
	v_and_b32_e32 v12, 63, v22
	v_and_b32_e32 v16, 0x3f0, v16
	v_lshl_add_u32 v12, v12, 4, 0
	v_add_nc_u32_e32 v16, s3, v16
	ds_read_b128 v[16:19], v16 offset:1024
	v_mul_f64 v[1:2], v[26:27], v[3:4]
	v_mul_f64 v[3:4], v[24:25], v[3:4]
	v_fma_f64 v[1:2], v[24:25], v[14:15], v[1:2]
	v_fma_f64 v[3:4], v[26:27], v[14:15], -v[3:4]
	ds_read_b128 v[12:15], v12 offset:20000
	v_add_nc_u32_e32 v26, v22, v5
	s_waitcnt lgkmcnt(0)
	v_mul_f64 v[20:21], v[14:15], v[18:19]
	v_fma_f64 v[20:21], v[12:13], v[16:17], -v[20:21]
	v_mul_f64 v[12:13], v[12:13], v[18:19]
	v_fma_f64 v[16:17], v[14:15], v[16:17], v[12:13]
	v_lshrrev_b32_e32 v12, 8, v22
	v_and_b32_e32 v12, 0x3f0, v12
	v_add_nc_u32_e32 v12, s3, v12
	ds_read_b128 v[12:15], v12 offset:2048
	s_waitcnt lgkmcnt(0)
	v_mul_f64 v[18:19], v[16:17], v[14:15]
	v_mul_f64 v[14:15], v[20:21], v[14:15]
	v_fma_f64 v[18:19], v[12:13], v[20:21], -v[18:19]
	v_fma_f64 v[14:15], v[12:13], v[16:17], v[14:15]
	v_lshrrev_b32_e32 v20, 2, v26
	v_and_b32_e32 v16, 63, v26
	v_and_b32_e32 v20, 0x3f0, v20
	v_lshl_add_u32 v16, v16, 4, 0
	v_add_nc_u32_e32 v20, s3, v20
	ds_read_b128 v[20:23], v20 offset:1024
	v_mul_f64 v[12:13], v[30:31], v[14:15]
	v_mul_f64 v[14:15], v[32:33], v[14:15]
	v_fma_f64 v[12:13], v[32:33], v[18:19], v[12:13]
	v_fma_f64 v[14:15], v[30:31], v[18:19], -v[14:15]
	ds_read_b128 v[16:19], v16 offset:20000
	v_add_nc_u32_e32 v32, v26, v5
	v_add_nc_u32_e32 v5, v32, v5
	s_waitcnt lgkmcnt(0)
	v_mul_f64 v[24:25], v[18:19], v[22:23]
	v_fma_f64 v[24:25], v[16:17], v[20:21], -v[24:25]
	v_mul_f64 v[16:17], v[16:17], v[22:23]
	v_fma_f64 v[20:21], v[18:19], v[20:21], v[16:17]
	v_lshrrev_b32_e32 v16, 8, v26
	v_and_b32_e32 v16, 0x3f0, v16
	v_add_nc_u32_e32 v16, s3, v16
	ds_read_b128 v[16:19], v16 offset:2048
	s_waitcnt lgkmcnt(0)
	v_mul_f64 v[22:23], v[20:21], v[18:19]
	v_mul_f64 v[18:19], v[24:25], v[18:19]
	v_fma_f64 v[22:23], v[16:17], v[24:25], -v[22:23]
	v_fma_f64 v[18:19], v[16:17], v[20:21], v[18:19]
	v_lshrrev_b32_e32 v24, 2, v32
	v_and_b32_e32 v20, 63, v32
	v_and_b32_e32 v24, 0x3f0, v24
	v_lshl_add_u32 v20, v20, 4, 0
	v_add_nc_u32_e32 v24, s3, v24
	ds_read_b128 v[24:27], v24 offset:1024
	v_mul_f64 v[16:17], v[36:37], v[18:19]
	v_mul_f64 v[18:19], v[34:35], v[18:19]
	v_fma_f64 v[16:17], v[34:35], v[22:23], v[16:17]
	v_fma_f64 v[18:19], v[36:37], v[22:23], -v[18:19]
	ds_read_b128 v[20:23], v20 offset:20000
	s_waitcnt lgkmcnt(0)
	v_mul_f64 v[30:31], v[22:23], v[26:27]
	v_fma_f64 v[30:31], v[20:21], v[24:25], -v[30:31]
	v_mul_f64 v[20:21], v[20:21], v[26:27]
	v_fma_f64 v[24:25], v[22:23], v[24:25], v[20:21]
	v_lshrrev_b32_e32 v20, 8, v32
	v_and_b32_e32 v20, 0x3f0, v20
	v_add_nc_u32_e32 v20, s3, v20
	ds_read_b128 v[20:23], v20 offset:2048
	s_waitcnt lgkmcnt(0)
	v_mul_f64 v[26:27], v[24:25], v[22:23]
	v_mul_f64 v[22:23], v[30:31], v[22:23]
	v_fma_f64 v[26:27], v[20:21], v[30:31], -v[26:27]
	v_fma_f64 v[22:23], v[20:21], v[24:25], v[22:23]
	v_and_b32_e32 v24, 63, v5
	v_lshl_add_u32 v24, v24, 4, 0
	v_mul_f64 v[20:21], v[38:39], v[22:23]
	v_mul_f64 v[22:23], v[28:29], v[22:23]
	v_fma_f64 v[20:21], v[28:29], v[26:27], v[20:21]
	v_lshrrev_b32_e32 v28, 2, v5
	v_fma_f64 v[22:23], v[38:39], v[26:27], -v[22:23]
	ds_read_b128 v[24:27], v24 offset:20000
	v_lshrrev_b32_e32 v5, 8, v5
	v_and_b32_e32 v28, 0x3f0, v28
	v_and_b32_e32 v5, 0x3f0, v5
	v_add_nc_u32_e32 v28, s3, v28
	v_add_nc_u32_e32 v5, s3, v5
	ds_read_b128 v[28:31], v28 offset:1024
	s_waitcnt lgkmcnt(0)
	v_mul_f64 v[32:33], v[26:27], v[30:31]
	v_fma_f64 v[32:33], v[24:25], v[28:29], -v[32:33]
	v_mul_f64 v[24:25], v[24:25], v[30:31]
	v_fma_f64 v[28:29], v[26:27], v[28:29], v[24:25]
	ds_read_b128 v[24:27], v5 offset:2048
	s_waitcnt lgkmcnt(0)
	v_mul_f64 v[30:31], v[28:29], v[26:27]
	v_mul_f64 v[26:27], v[32:33], v[26:27]
	v_fma_f64 v[30:31], v[24:25], v[32:33], -v[30:31]
	v_fma_f64 v[26:27], v[24:25], v[28:29], v[26:27]
	v_mul_f64 v[24:25], v[8:9], v[26:27]
	v_fma_f64 v[24:25], v[6:7], v[30:31], v[24:25]
	v_mul_f64 v[5:6], v[6:7], v[26:27]
	v_fma_f64 v[26:27], v[8:9], v[30:31], -v[5:6]
	v_mul_lo_u32 v5, s2, v10
	v_mul_lo_u32 v6, s0, v0
	v_add_lshl_u32 v6, v5, v6, 4
	v_cndmask_b32_e32 v6, -1, v6, vcc_lo
	buffer_store_dwordx4 v[1:4], v6, s[4:7], s1 offen
	v_add_nc_u32_e32 v1, 25, v0
	v_mul_lo_u32 v1, s0, v1
	v_add_lshl_u32 v1, v5, v1, 4
	v_cndmask_b32_e32 v1, -1, v1, vcc_lo
	buffer_store_dwordx4 v[12:15], v1, s[4:7], s1 offen
	v_add_nc_u32_e32 v1, 50, v0
	;; [unrolled: 5-line block ×3, first 2 shown]
	v_add_nc_u32_e32 v0, 0x64, v0
	v_mul_lo_u32 v1, s0, v1
	v_mul_lo_u32 v0, s0, v0
	v_add_lshl_u32 v1, v5, v1, 4
	v_add_lshl_u32 v0, v5, v0, 4
	v_cndmask_b32_e32 v1, -1, v1, vcc_lo
	v_cndmask_b32_e32 v0, -1, v0, vcc_lo
	buffer_store_dwordx4 v[20:23], v1, s[4:7], s1 offen
	buffer_store_dwordx4 v[24:27], v0, s[4:7], s1 offen
	s_endpgm
	.section	.rodata,"a",@progbits
	.p2align	6, 0x0
	.amdhsa_kernel fft_rtc_back_len125_factors_5_5_5_wgs_250_tpt_25_dim3_dp_op_CI_CI_sbcc_twdbase6_3step_dirReg_intrinsicReadWrite
		.amdhsa_group_segment_fixed_size 0
		.amdhsa_private_segment_fixed_size 0
		.amdhsa_kernarg_size 104
		.amdhsa_user_sgpr_count 6
		.amdhsa_user_sgpr_private_segment_buffer 1
		.amdhsa_user_sgpr_dispatch_ptr 0
		.amdhsa_user_sgpr_queue_ptr 0
		.amdhsa_user_sgpr_kernarg_segment_ptr 1
		.amdhsa_user_sgpr_dispatch_id 0
		.amdhsa_user_sgpr_flat_scratch_init 0
		.amdhsa_user_sgpr_private_segment_size 0
		.amdhsa_wavefront_size32 1
		.amdhsa_uses_dynamic_stack 0
		.amdhsa_system_sgpr_private_segment_wavefront_offset 0
		.amdhsa_system_sgpr_workgroup_id_x 1
		.amdhsa_system_sgpr_workgroup_id_y 0
		.amdhsa_system_sgpr_workgroup_id_z 0
		.amdhsa_system_sgpr_workgroup_info 0
		.amdhsa_system_vgpr_workitem_id 0
		.amdhsa_next_free_vgpr 45
		.amdhsa_next_free_sgpr 38
		.amdhsa_reserve_vcc 1
		.amdhsa_reserve_flat_scratch 0
		.amdhsa_float_round_mode_32 0
		.amdhsa_float_round_mode_16_64 0
		.amdhsa_float_denorm_mode_32 3
		.amdhsa_float_denorm_mode_16_64 3
		.amdhsa_dx10_clamp 1
		.amdhsa_ieee_mode 1
		.amdhsa_fp16_overflow 0
		.amdhsa_workgroup_processor_mode 1
		.amdhsa_memory_ordered 1
		.amdhsa_forward_progress 0
		.amdhsa_shared_vgpr_count 0
		.amdhsa_exception_fp_ieee_invalid_op 0
		.amdhsa_exception_fp_denorm_src 0
		.amdhsa_exception_fp_ieee_div_zero 0
		.amdhsa_exception_fp_ieee_overflow 0
		.amdhsa_exception_fp_ieee_underflow 0
		.amdhsa_exception_fp_ieee_inexact 0
		.amdhsa_exception_int_div_zero 0
	.end_amdhsa_kernel
	.text
.Lfunc_end0:
	.size	fft_rtc_back_len125_factors_5_5_5_wgs_250_tpt_25_dim3_dp_op_CI_CI_sbcc_twdbase6_3step_dirReg_intrinsicReadWrite, .Lfunc_end0-fft_rtc_back_len125_factors_5_5_5_wgs_250_tpt_25_dim3_dp_op_CI_CI_sbcc_twdbase6_3step_dirReg_intrinsicReadWrite
                                        ; -- End function
	.section	.AMDGPU.csdata,"",@progbits
; Kernel info:
; codeLenInByte = 4472
; NumSgprs: 40
; NumVgprs: 45
; ScratchSize: 0
; MemoryBound: 0
; FloatMode: 240
; IeeeMode: 1
; LDSByteSize: 0 bytes/workgroup (compile time only)
; SGPRBlocks: 4
; VGPRBlocks: 5
; NumSGPRsForWavesPerEU: 40
; NumVGPRsForWavesPerEU: 45
; Occupancy: 16
; WaveLimiterHint : 0
; COMPUTE_PGM_RSRC2:SCRATCH_EN: 0
; COMPUTE_PGM_RSRC2:USER_SGPR: 6
; COMPUTE_PGM_RSRC2:TRAP_HANDLER: 0
; COMPUTE_PGM_RSRC2:TGID_X_EN: 1
; COMPUTE_PGM_RSRC2:TGID_Y_EN: 0
; COMPUTE_PGM_RSRC2:TGID_Z_EN: 0
; COMPUTE_PGM_RSRC2:TIDIG_COMP_CNT: 0
	.text
	.p2alignl 6, 3214868480
	.fill 48, 4, 3214868480
	.type	__hip_cuid_ec32b94f7b07881b,@object ; @__hip_cuid_ec32b94f7b07881b
	.section	.bss,"aw",@nobits
	.globl	__hip_cuid_ec32b94f7b07881b
__hip_cuid_ec32b94f7b07881b:
	.byte	0                               ; 0x0
	.size	__hip_cuid_ec32b94f7b07881b, 1

	.ident	"AMD clang version 19.0.0git (https://github.com/RadeonOpenCompute/llvm-project roc-6.4.0 25133 c7fe45cf4b819c5991fe208aaa96edf142730f1d)"
	.section	".note.GNU-stack","",@progbits
	.addrsig
	.addrsig_sym __hip_cuid_ec32b94f7b07881b
	.amdgpu_metadata
---
amdhsa.kernels:
  - .args:
      - .actual_access:  read_only
        .address_space:  global
        .offset:         0
        .size:           8
        .value_kind:     global_buffer
      - .address_space:  global
        .offset:         8
        .size:           8
        .value_kind:     global_buffer
      - .actual_access:  read_only
        .address_space:  global
        .offset:         16
        .size:           8
        .value_kind:     global_buffer
      - .actual_access:  read_only
        .address_space:  global
        .offset:         24
        .size:           8
        .value_kind:     global_buffer
      - .actual_access:  read_only
        .address_space:  global
        .offset:         32
        .size:           8
        .value_kind:     global_buffer
      - .offset:         40
        .size:           8
        .value_kind:     by_value
      - .actual_access:  read_only
        .address_space:  global
        .offset:         48
        .size:           8
        .value_kind:     global_buffer
      - .actual_access:  read_only
        .address_space:  global
        .offset:         56
        .size:           8
        .value_kind:     global_buffer
      - .offset:         64
        .size:           4
        .value_kind:     by_value
      - .actual_access:  read_only
        .address_space:  global
        .offset:         72
        .size:           8
        .value_kind:     global_buffer
      - .actual_access:  read_only
        .address_space:  global
        .offset:         80
        .size:           8
        .value_kind:     global_buffer
      - .address_space:  global
        .offset:         88
        .size:           8
        .value_kind:     global_buffer
      - .address_space:  global
        .offset:         96
        .size:           8
        .value_kind:     global_buffer
    .group_segment_fixed_size: 0
    .kernarg_segment_align: 8
    .kernarg_segment_size: 104
    .language:       OpenCL C
    .language_version:
      - 2
      - 0
    .max_flat_workgroup_size: 250
    .name:           fft_rtc_back_len125_factors_5_5_5_wgs_250_tpt_25_dim3_dp_op_CI_CI_sbcc_twdbase6_3step_dirReg_intrinsicReadWrite
    .private_segment_fixed_size: 0
    .sgpr_count:     40
    .sgpr_spill_count: 0
    .symbol:         fft_rtc_back_len125_factors_5_5_5_wgs_250_tpt_25_dim3_dp_op_CI_CI_sbcc_twdbase6_3step_dirReg_intrinsicReadWrite.kd
    .uniform_work_group_size: 1
    .uses_dynamic_stack: false
    .vgpr_count:     45
    .vgpr_spill_count: 0
    .wavefront_size: 32
    .workgroup_processor_mode: 1
amdhsa.target:   amdgcn-amd-amdhsa--gfx1030
amdhsa.version:
  - 1
  - 2
...

	.end_amdgpu_metadata
